;; amdgpu-corpus repo=ROCm/rocFFT kind=compiled arch=gfx906 opt=O3
	.text
	.amdgcn_target "amdgcn-amd-amdhsa--gfx906"
	.amdhsa_code_object_version 6
	.protected	fft_rtc_fwd_len450_factors_10_5_3_3_wgs_120_tpt_30_halfLds_sp_ip_CI_unitstride_sbrr_R2C_dirReg ; -- Begin function fft_rtc_fwd_len450_factors_10_5_3_3_wgs_120_tpt_30_halfLds_sp_ip_CI_unitstride_sbrr_R2C_dirReg
	.globl	fft_rtc_fwd_len450_factors_10_5_3_3_wgs_120_tpt_30_halfLds_sp_ip_CI_unitstride_sbrr_R2C_dirReg
	.p2align	8
	.type	fft_rtc_fwd_len450_factors_10_5_3_3_wgs_120_tpt_30_halfLds_sp_ip_CI_unitstride_sbrr_R2C_dirReg,@function
fft_rtc_fwd_len450_factors_10_5_3_3_wgs_120_tpt_30_halfLds_sp_ip_CI_unitstride_sbrr_R2C_dirReg: ; @fft_rtc_fwd_len450_factors_10_5_3_3_wgs_120_tpt_30_halfLds_sp_ip_CI_unitstride_sbrr_R2C_dirReg
; %bb.0:
	s_load_dwordx2 s[12:13], s[4:5], 0x50
	s_load_dwordx4 s[8:11], s[4:5], 0x0
	s_load_dwordx2 s[2:3], s[4:5], 0x18
	v_mul_u32_u24_e32 v1, 0x889, v0
	v_lshrrev_b32_e32 v9, 16, v1
	v_mov_b32_e32 v3, 0
	s_waitcnt lgkmcnt(0)
	v_cmp_lt_u64_e64 s[0:1], s[10:11], 2
	v_mov_b32_e32 v1, 0
	v_lshl_add_u32 v5, s6, 2, v9
	v_mov_b32_e32 v6, v3
	s_and_b64 vcc, exec, s[0:1]
	v_mov_b32_e32 v2, 0
	s_cbranch_vccnz .LBB0_8
; %bb.1:
	s_load_dwordx2 s[0:1], s[4:5], 0x10
	s_add_u32 s6, s2, 8
	s_addc_u32 s7, s3, 0
	v_mov_b32_e32 v1, 0
	v_mov_b32_e32 v2, 0
	s_waitcnt lgkmcnt(0)
	s_add_u32 s14, s0, 8
	s_addc_u32 s15, s1, 0
	s_mov_b64 s[16:17], 1
.LBB0_2:                                ; =>This Inner Loop Header: Depth=1
	s_load_dwordx2 s[18:19], s[14:15], 0x0
                                        ; implicit-def: $vgpr7_vgpr8
	s_waitcnt lgkmcnt(0)
	v_or_b32_e32 v4, s19, v6
	v_cmp_ne_u64_e32 vcc, 0, v[3:4]
	s_and_saveexec_b64 s[0:1], vcc
	s_xor_b64 s[20:21], exec, s[0:1]
	s_cbranch_execz .LBB0_4
; %bb.3:                                ;   in Loop: Header=BB0_2 Depth=1
	v_cvt_f32_u32_e32 v4, s18
	v_cvt_f32_u32_e32 v7, s19
	s_sub_u32 s0, 0, s18
	s_subb_u32 s1, 0, s19
	v_mac_f32_e32 v4, 0x4f800000, v7
	v_rcp_f32_e32 v4, v4
	v_mul_f32_e32 v4, 0x5f7ffffc, v4
	v_mul_f32_e32 v7, 0x2f800000, v4
	v_trunc_f32_e32 v7, v7
	v_mac_f32_e32 v4, 0xcf800000, v7
	v_cvt_u32_f32_e32 v7, v7
	v_cvt_u32_f32_e32 v4, v4
	v_mul_lo_u32 v8, s0, v7
	v_mul_hi_u32 v10, s0, v4
	v_mul_lo_u32 v12, s1, v4
	v_mul_lo_u32 v11, s0, v4
	v_add_u32_e32 v8, v10, v8
	v_add_u32_e32 v8, v8, v12
	v_mul_hi_u32 v10, v4, v11
	v_mul_lo_u32 v12, v4, v8
	v_mul_hi_u32 v14, v4, v8
	v_mul_hi_u32 v13, v7, v11
	v_mul_lo_u32 v11, v7, v11
	v_mul_hi_u32 v15, v7, v8
	v_add_co_u32_e32 v10, vcc, v10, v12
	v_addc_co_u32_e32 v12, vcc, 0, v14, vcc
	v_mul_lo_u32 v8, v7, v8
	v_add_co_u32_e32 v10, vcc, v10, v11
	v_addc_co_u32_e32 v10, vcc, v12, v13, vcc
	v_addc_co_u32_e32 v11, vcc, 0, v15, vcc
	v_add_co_u32_e32 v8, vcc, v10, v8
	v_addc_co_u32_e32 v10, vcc, 0, v11, vcc
	v_add_co_u32_e32 v4, vcc, v4, v8
	v_addc_co_u32_e32 v7, vcc, v7, v10, vcc
	v_mul_lo_u32 v8, s0, v7
	v_mul_hi_u32 v10, s0, v4
	v_mul_lo_u32 v11, s1, v4
	v_mul_lo_u32 v12, s0, v4
	v_add_u32_e32 v8, v10, v8
	v_add_u32_e32 v8, v8, v11
	v_mul_lo_u32 v13, v4, v8
	v_mul_hi_u32 v14, v4, v12
	v_mul_hi_u32 v15, v4, v8
	;; [unrolled: 1-line block ×3, first 2 shown]
	v_mul_lo_u32 v12, v7, v12
	v_mul_hi_u32 v10, v7, v8
	v_add_co_u32_e32 v13, vcc, v14, v13
	v_addc_co_u32_e32 v14, vcc, 0, v15, vcc
	v_mul_lo_u32 v8, v7, v8
	v_add_co_u32_e32 v12, vcc, v13, v12
	v_addc_co_u32_e32 v11, vcc, v14, v11, vcc
	v_addc_co_u32_e32 v10, vcc, 0, v10, vcc
	v_add_co_u32_e32 v8, vcc, v11, v8
	v_addc_co_u32_e32 v10, vcc, 0, v10, vcc
	v_add_co_u32_e32 v4, vcc, v4, v8
	v_addc_co_u32_e32 v10, vcc, v7, v10, vcc
	v_mad_u64_u32 v[7:8], s[0:1], v5, v10, 0
	v_mul_hi_u32 v11, v5, v4
	v_add_co_u32_e32 v12, vcc, v11, v7
	v_addc_co_u32_e32 v13, vcc, 0, v8, vcc
	v_mad_u64_u32 v[7:8], s[0:1], v6, v4, 0
	v_mad_u64_u32 v[10:11], s[0:1], v6, v10, 0
	v_add_co_u32_e32 v4, vcc, v12, v7
	v_addc_co_u32_e32 v4, vcc, v13, v8, vcc
	v_addc_co_u32_e32 v7, vcc, 0, v11, vcc
	v_add_co_u32_e32 v4, vcc, v4, v10
	v_addc_co_u32_e32 v10, vcc, 0, v7, vcc
	v_mul_lo_u32 v11, s19, v4
	v_mul_lo_u32 v12, s18, v10
	v_mad_u64_u32 v[7:8], s[0:1], s18, v4, 0
	v_add3_u32 v8, v8, v12, v11
	v_sub_u32_e32 v11, v6, v8
	v_mov_b32_e32 v12, s19
	v_sub_co_u32_e32 v7, vcc, v5, v7
	v_subb_co_u32_e64 v11, s[0:1], v11, v12, vcc
	v_subrev_co_u32_e64 v12, s[0:1], s18, v7
	v_subbrev_co_u32_e64 v11, s[0:1], 0, v11, s[0:1]
	v_cmp_le_u32_e64 s[0:1], s19, v11
	v_cndmask_b32_e64 v13, 0, -1, s[0:1]
	v_cmp_le_u32_e64 s[0:1], s18, v12
	v_cndmask_b32_e64 v12, 0, -1, s[0:1]
	v_cmp_eq_u32_e64 s[0:1], s19, v11
	v_cndmask_b32_e64 v11, v13, v12, s[0:1]
	v_add_co_u32_e64 v12, s[0:1], 2, v4
	v_addc_co_u32_e64 v13, s[0:1], 0, v10, s[0:1]
	v_add_co_u32_e64 v14, s[0:1], 1, v4
	v_addc_co_u32_e64 v15, s[0:1], 0, v10, s[0:1]
	v_subb_co_u32_e32 v8, vcc, v6, v8, vcc
	v_cmp_ne_u32_e64 s[0:1], 0, v11
	v_cmp_le_u32_e32 vcc, s19, v8
	v_cndmask_b32_e64 v11, v15, v13, s[0:1]
	v_cndmask_b32_e64 v13, 0, -1, vcc
	v_cmp_le_u32_e32 vcc, s18, v7
	v_cndmask_b32_e64 v7, 0, -1, vcc
	v_cmp_eq_u32_e32 vcc, s19, v8
	v_cndmask_b32_e32 v7, v13, v7, vcc
	v_cmp_ne_u32_e32 vcc, 0, v7
	v_cndmask_b32_e64 v7, v14, v12, s[0:1]
	v_cndmask_b32_e32 v8, v10, v11, vcc
	v_cndmask_b32_e32 v7, v4, v7, vcc
.LBB0_4:                                ;   in Loop: Header=BB0_2 Depth=1
	s_andn2_saveexec_b64 s[0:1], s[20:21]
	s_cbranch_execz .LBB0_6
; %bb.5:                                ;   in Loop: Header=BB0_2 Depth=1
	v_cvt_f32_u32_e32 v4, s18
	s_sub_i32 s20, 0, s18
	v_rcp_iflag_f32_e32 v4, v4
	v_mul_f32_e32 v4, 0x4f7ffffe, v4
	v_cvt_u32_f32_e32 v4, v4
	v_mul_lo_u32 v7, s20, v4
	v_mul_hi_u32 v7, v4, v7
	v_add_u32_e32 v4, v4, v7
	v_mul_hi_u32 v4, v5, v4
	v_mul_lo_u32 v7, v4, s18
	v_add_u32_e32 v8, 1, v4
	v_sub_u32_e32 v7, v5, v7
	v_subrev_u32_e32 v10, s18, v7
	v_cmp_le_u32_e32 vcc, s18, v7
	v_cndmask_b32_e32 v7, v7, v10, vcc
	v_cndmask_b32_e32 v4, v4, v8, vcc
	v_add_u32_e32 v8, 1, v4
	v_cmp_le_u32_e32 vcc, s18, v7
	v_cndmask_b32_e32 v7, v4, v8, vcc
	v_mov_b32_e32 v8, v3
.LBB0_6:                                ;   in Loop: Header=BB0_2 Depth=1
	s_or_b64 exec, exec, s[0:1]
	v_mul_lo_u32 v4, v8, s18
	v_mul_lo_u32 v12, v7, s19
	v_mad_u64_u32 v[10:11], s[0:1], v7, s18, 0
	s_load_dwordx2 s[0:1], s[6:7], 0x0
	s_add_u32 s16, s16, 1
	v_add3_u32 v4, v11, v12, v4
	v_sub_co_u32_e32 v5, vcc, v5, v10
	v_subb_co_u32_e32 v4, vcc, v6, v4, vcc
	s_waitcnt lgkmcnt(0)
	v_mul_lo_u32 v4, s0, v4
	v_mul_lo_u32 v6, s1, v5
	v_mad_u64_u32 v[1:2], s[0:1], s0, v5, v[1:2]
	s_addc_u32 s17, s17, 0
	s_add_u32 s6, s6, 8
	v_add3_u32 v2, v6, v2, v4
	v_mov_b32_e32 v4, s10
	v_mov_b32_e32 v5, s11
	s_addc_u32 s7, s7, 0
	v_cmp_ge_u64_e32 vcc, s[16:17], v[4:5]
	s_add_u32 s14, s14, 8
	s_addc_u32 s15, s15, 0
	s_cbranch_vccnz .LBB0_9
; %bb.7:                                ;   in Loop: Header=BB0_2 Depth=1
	v_mov_b32_e32 v5, v7
	v_mov_b32_e32 v6, v8
	s_branch .LBB0_2
.LBB0_8:
	v_mov_b32_e32 v8, v6
	v_mov_b32_e32 v7, v5
.LBB0_9:
	s_lshl_b64 s[0:1], s[10:11], 3
	s_add_u32 s0, s2, s0
	s_addc_u32 s1, s3, s1
	s_load_dwordx2 s[2:3], s[0:1], 0x0
	s_load_dwordx2 s[6:7], s[4:5], 0x20
	v_and_b32_e32 v3, 3, v9
	s_waitcnt lgkmcnt(0)
	v_mad_u64_u32 v[1:2], s[0:1], s2, v7, v[1:2]
	s_mov_b32 s0, 0x8888889
	v_mul_lo_u32 v4, s2, v8
	v_mul_lo_u32 v5, s3, v7
	v_mul_hi_u32 v6, v0, s0
	v_cmp_gt_u64_e32 vcc, s[6:7], v[7:8]
	v_cmp_le_u64_e64 s[0:1], s[6:7], v[7:8]
	v_add3_u32 v2, v5, v2, v4
	v_mul_u32_u24_e32 v4, 30, v6
	v_sub_u32_e32 v36, v0, v4
	v_add_u32_e32 v40, 30, v36
	s_and_saveexec_b64 s[2:3], s[0:1]
	s_xor_b64 s[0:1], exec, s[2:3]
; %bb.10:
	v_add_u32_e32 v40, 30, v36
; %bb.11:
	s_or_saveexec_b64 s[2:3], s[0:1]
	v_mul_u32_u24_e32 v0, 0x1c3, v3
	v_lshlrev_b64 v[38:39], 3, v[1:2]
	v_lshlrev_b32_e32 v50, 3, v0
	v_lshlrev_b32_e32 v47, 3, v36
	s_xor_b64 exec, exec, s[2:3]
	s_cbranch_execz .LBB0_13
; %bb.12:
	v_mov_b32_e32 v37, 0
	v_mov_b32_e32 v0, s13
	v_add_co_u32_e64 v2, s[0:1], s12, v38
	v_addc_co_u32_e64 v3, s[0:1], v0, v39, s[0:1]
	v_lshlrev_b64 v[0:1], 3, v[36:37]
	v_add_co_u32_e64 v0, s[0:1], v2, v0
	v_addc_co_u32_e64 v1, s[0:1], v3, v1, s[0:1]
	global_load_dwordx2 v[2:3], v[0:1], off
	global_load_dwordx2 v[4:5], v[0:1], off offset:240
	global_load_dwordx2 v[6:7], v[0:1], off offset:480
	global_load_dwordx2 v[8:9], v[0:1], off offset:720
	global_load_dwordx2 v[10:11], v[0:1], off offset:960
	global_load_dwordx2 v[12:13], v[0:1], off offset:1200
	global_load_dwordx2 v[14:15], v[0:1], off offset:1440
	global_load_dwordx2 v[16:17], v[0:1], off offset:1680
	global_load_dwordx2 v[18:19], v[0:1], off offset:1920
	global_load_dwordx2 v[20:21], v[0:1], off offset:2160
	global_load_dwordx2 v[22:23], v[0:1], off offset:2400
	global_load_dwordx2 v[24:25], v[0:1], off offset:2640
	global_load_dwordx2 v[26:27], v[0:1], off offset:2880
	global_load_dwordx2 v[28:29], v[0:1], off offset:3120
	global_load_dwordx2 v[30:31], v[0:1], off offset:3360
	v_add3_u32 v0, 0, v50, v47
	v_add_u32_e32 v1, 0x400, v0
	v_add_u32_e32 v32, 0x800, v0
	s_waitcnt vmcnt(13)
	ds_write2_b64 v0, v[2:3], v[4:5] offset1:30
	s_waitcnt vmcnt(11)
	ds_write2_b64 v0, v[6:7], v[8:9] offset0:60 offset1:90
	s_waitcnt vmcnt(9)
	ds_write2_b64 v0, v[10:11], v[12:13] offset0:120 offset1:150
	;; [unrolled: 2-line block ×6, first 2 shown]
	s_waitcnt vmcnt(0)
	ds_write_b64 v0, v[30:31] offset:3360
.LBB0_13:
	s_or_b64 exec, exec, s[2:3]
	v_add_u32_e32 v46, 0, v50
	v_add_u32_e32 v45, v46, v47
	;; [unrolled: 1-line block ×3, first 2 shown]
	s_waitcnt lgkmcnt(0)
	s_barrier
	ds_read_b64 v[43:44], v45
	v_add_u32_e32 v37, v0, v50
	v_add_u32_e32 v49, 0x400, v37
	ds_read2_b64 v[28:31], v37 offset0:30 offset1:45
	ds_read2_b64 v[0:3], v37 offset0:75 offset1:90
	;; [unrolled: 1-line block ×6, first 2 shown]
	v_add_u32_e32 v48, 0x800, v37
	ds_read2_b64 v[12:15], v48 offset0:44 offset1:59
	ds_read2_b64 v[16:19], v48 offset0:89 offset1:104
	;; [unrolled: 1-line block ×3, first 2 shown]
	ds_read_b64 v[41:42], v37 offset:3480
	s_waitcnt lgkmcnt(8)
	v_add_f32_e32 v51, v43, v2
	s_waitcnt lgkmcnt(6)
	v_add_f32_e32 v51, v51, v6
	;; [unrolled: 2-line block ×4, first 2 shown]
	v_add_f32_e32 v51, v6, v10
	v_fma_f32 v51, -0.5, v51, v43
	v_sub_f32_e32 v55, v3, v19
	v_mov_b32_e32 v53, v51
	v_fmac_f32_e32 v53, 0x3f737871, v55
	v_sub_f32_e32 v56, v7, v11
	v_sub_f32_e32 v54, v2, v6
	;; [unrolled: 1-line block ×3, first 2 shown]
	v_fmac_f32_e32 v51, 0xbf737871, v55
	v_fmac_f32_e32 v53, 0x3f167918, v56
	v_add_f32_e32 v54, v54, v57
	v_fmac_f32_e32 v51, 0xbf167918, v56
	v_fmac_f32_e32 v53, 0x3e9e377a, v54
	;; [unrolled: 1-line block ×3, first 2 shown]
	v_add_f32_e32 v54, v2, v18
	v_fma_f32 v43, -0.5, v54, v43
	v_mov_b32_e32 v54, v43
	v_fmac_f32_e32 v54, 0xbf737871, v56
	v_fmac_f32_e32 v43, 0x3f737871, v56
	;; [unrolled: 1-line block ×4, first 2 shown]
	v_add_f32_e32 v55, v44, v3
	v_add_f32_e32 v55, v55, v7
	;; [unrolled: 1-line block ×5, first 2 shown]
	v_sub_f32_e32 v57, v6, v2
	v_sub_f32_e32 v58, v10, v18
	v_fma_f32 v55, -0.5, v55, v44
	v_add_f32_e32 v57, v57, v58
	v_sub_f32_e32 v18, v2, v18
	v_mov_b32_e32 v2, v55
	v_fmac_f32_e32 v54, 0x3e9e377a, v57
	v_fmac_f32_e32 v43, 0x3e9e377a, v57
	;; [unrolled: 1-line block ×3, first 2 shown]
	v_sub_f32_e32 v10, v6, v10
	v_sub_f32_e32 v6, v3, v7
	;; [unrolled: 1-line block ×3, first 2 shown]
	v_fmac_f32_e32 v55, 0x3f737871, v18
	v_fmac_f32_e32 v2, 0xbf167918, v10
	v_add_f32_e32 v6, v6, v57
	v_fmac_f32_e32 v55, 0x3f167918, v10
	v_fmac_f32_e32 v2, 0x3e9e377a, v6
	;; [unrolled: 1-line block ×3, first 2 shown]
	v_add_f32_e32 v6, v3, v19
	v_sub_f32_e32 v3, v7, v3
	v_sub_f32_e32 v7, v11, v19
	v_fmac_f32_e32 v44, -0.5, v6
	v_add_f32_e32 v3, v3, v7
	v_add_f32_e32 v7, v26, v14
	v_mov_b32_e32 v6, v44
	v_fma_f32 v7, -0.5, v7, v30
	v_fmac_f32_e32 v6, 0x3f737871, v10
	v_fmac_f32_e32 v44, 0xbf737871, v10
	s_waitcnt lgkmcnt(1)
	v_sub_f32_e32 v10, v35, v23
	v_mov_b32_e32 v19, v7
	v_fmac_f32_e32 v6, 0xbf167918, v18
	v_fmac_f32_e32 v44, 0x3f167918, v18
	;; [unrolled: 1-line block ×3, first 2 shown]
	v_sub_f32_e32 v11, v27, v15
	v_sub_f32_e32 v18, v34, v26
	;; [unrolled: 1-line block ×3, first 2 shown]
	v_fmac_f32_e32 v7, 0xbf737871, v10
	v_fmac_f32_e32 v19, 0x3f167918, v11
	v_add_f32_e32 v18, v18, v57
	v_fmac_f32_e32 v7, 0xbf167918, v11
	v_fmac_f32_e32 v19, 0x3e9e377a, v18
	;; [unrolled: 1-line block ×3, first 2 shown]
	v_add_f32_e32 v18, v34, v22
	v_fmac_f32_e32 v6, 0x3e9e377a, v3
	v_fmac_f32_e32 v44, 0x3e9e377a, v3
	v_add_f32_e32 v3, v30, v34
	v_fma_f32 v30, -0.5, v18, v30
	v_mov_b32_e32 v57, v30
	v_fmac_f32_e32 v57, 0xbf737871, v11
	v_fmac_f32_e32 v30, 0x3f737871, v11
	;; [unrolled: 1-line block ×4, first 2 shown]
	v_add_f32_e32 v10, v31, v35
	v_add_f32_e32 v10, v10, v27
	v_sub_f32_e32 v18, v26, v34
	v_sub_f32_e32 v58, v14, v22
	v_add_f32_e32 v10, v10, v15
	v_add_f32_e32 v18, v18, v58
	;; [unrolled: 1-line block ×4, first 2 shown]
	v_fma_f32 v59, -0.5, v10, v31
	v_add_f32_e32 v3, v3, v26
	v_sub_f32_e32 v10, v34, v22
	v_mov_b32_e32 v34, v59
	v_add_f32_e32 v3, v3, v14
	v_fmac_f32_e32 v57, 0x3e9e377a, v18
	v_fmac_f32_e32 v30, 0x3e9e377a, v18
	;; [unrolled: 1-line block ×3, first 2 shown]
	v_sub_f32_e32 v11, v26, v14
	v_sub_f32_e32 v14, v35, v27
	;; [unrolled: 1-line block ×3, first 2 shown]
	v_fmac_f32_e32 v59, 0x3f737871, v10
	v_fmac_f32_e32 v34, 0xbf167918, v11
	v_add_f32_e32 v14, v14, v18
	v_fmac_f32_e32 v59, 0x3f167918, v11
	v_fmac_f32_e32 v34, 0x3e9e377a, v14
	;; [unrolled: 1-line block ×3, first 2 shown]
	v_add_f32_e32 v14, v35, v23
	v_fma_f32 v31, -0.5, v14, v31
	v_mov_b32_e32 v60, v31
	v_fmac_f32_e32 v60, 0x3f737871, v11
	v_sub_f32_e32 v14, v27, v35
	v_sub_f32_e32 v15, v15, v23
	v_fmac_f32_e32 v60, 0xbf167918, v10
	v_add_f32_e32 v14, v14, v15
	v_fmac_f32_e32 v31, 0xbf737871, v11
	v_fmac_f32_e32 v60, 0x3e9e377a, v14
	;; [unrolled: 1-line block ×3, first 2 shown]
	v_mul_f32_e32 v35, 0x3f4f1bbd, v19
	v_mul_f32_e32 v64, 0xbf167918, v19
	s_mov_b32 s4, 0x3f737871
	v_fmac_f32_e32 v31, 0x3e9e377a, v14
	v_fmac_f32_e32 v35, 0x3f167918, v34
	v_mul_f32_e32 v61, 0x3f737871, v60
	v_mul_f32_e32 v11, 0x3e9e377a, v30
	v_fmac_f32_e32 v64, 0x3f4f1bbd, v34
	s_mov_b32 s5, 0x3f167918
	s_mov_b32 s6, 0xbf737871
	;; [unrolled: 1-line block ×3, first 2 shown]
	v_add_f32_e32 v3, v3, v22
	v_add_f32_e32 v14, v53, v35
	v_fmac_f32_e32 v61, 0x3e9e377a, v57
	v_fma_f32 v62, v31, s4, -v11
	v_mul_f32_e32 v11, 0x3f4f1bbd, v7
	v_add_f32_e32 v15, v2, v64
	v_mul_f32_e32 v57, 0xbf737871, v57
	v_mul_f32_e32 v23, 0x3e9e377a, v31
	v_mul_f32_e32 v27, 0x3f4f1bbd, v59
	v_sub_f32_e32 v34, v53, v35
	v_sub_f32_e32 v35, v2, v64
	v_mul_u32_u24_e32 v2, 10, v36
	v_add_f32_e32 v10, v52, v3
	v_fma_f32 v63, v59, s5, -v11
	v_add_f32_e32 v11, v56, v58
	v_fmac_f32_e32 v57, 0x3e9e377a, v60
	v_fma_f32 v60, v30, s6, -v23
	v_fma_f32 v7, v7, s7, -v27
	v_lshl_add_u32 v2, v2, 3, v46
	v_cmp_gt_u32_e64 s[0:1], 15, v36
	v_add_f32_e32 v18, v54, v61
	v_add_f32_e32 v22, v43, v62
	;; [unrolled: 1-line block ×6, first 2 shown]
	v_sub_f32_e32 v30, v52, v3
	v_sub_f32_e32 v52, v54, v61
	;; [unrolled: 1-line block ×8, first 2 shown]
	s_waitcnt lgkmcnt(0)
	s_barrier
	ds_write2_b64 v2, v[10:11], v[14:15] offset1:1
	ds_write2_b64 v2, v[18:19], v[22:23] offset0:2 offset1:3
	ds_write2_b64 v2, v[26:27], v[30:31] offset0:4 offset1:5
	;; [unrolled: 1-line block ×4, first 2 shown]
	s_and_saveexec_b64 s[2:3], s[0:1]
	s_cbranch_execz .LBB0_15
; %bb.14:
	v_add_f32_e32 v31, v33, v21
	v_sub_f32_e32 v43, v25, v33
	v_sub_f32_e32 v52, v13, v21
	v_fma_f32 v31, -0.5, v31, v29
	v_add_f32_e32 v43, v43, v52
	v_sub_f32_e32 v52, v8, v4
	v_sub_f32_e32 v53, v16, v41
	;; [unrolled: 1-line block ×7, first 2 shown]
	v_add_f32_e32 v52, v52, v53
	v_mov_b32_e32 v53, v31
	v_sub_f32_e32 v54, v9, v5
	v_sub_f32_e32 v55, v17, v42
	v_add_f32_e32 v3, v2, v3
	v_sub_f32_e32 v2, v32, v20
	v_add_f32_e32 v14, v10, v14
	v_add_f32_e32 v10, v8, v16
	;; [unrolled: 1-line block ×3, first 2 shown]
	v_fmac_f32_e32 v53, 0xbf737871, v6
	v_add_f32_e32 v54, v54, v55
	v_add_f32_e32 v55, v5, v42
	v_fmac_f32_e32 v31, 0x3f737871, v6
	v_fma_f32 v15, -0.5, v10, v0
	v_sub_f32_e32 v22, v5, v9
	v_sub_f32_e32 v23, v42, v17
	v_fma_f32 v27, -0.5, v27, v1
	v_add_f32_e32 v34, v24, v12
	v_add_f32_e32 v35, v32, v20
	v_fmac_f32_e32 v53, 0x3f167918, v2
	v_fma_f32 v55, -0.5, v55, v1
	v_fmac_f32_e32 v31, 0xbf167918, v2
	v_sub_f32_e32 v10, v5, v42
	v_mov_b32_e32 v18, v15
	v_add_f32_e32 v22, v22, v23
	v_sub_f32_e32 v23, v8, v16
	v_sub_f32_e32 v26, v4, v41
	v_mov_b32_e32 v30, v27
	v_fma_f32 v34, -0.5, v34, v28
	v_fma_f32 v35, -0.5, v35, v28
	v_add_f32_e32 v28, v28, v32
	v_fmac_f32_e32 v53, 0x3e9e377a, v43
	v_fmac_f32_e32 v31, 0x3e9e377a, v43
	v_mov_b32_e32 v43, v55
	v_add_f32_e32 v7, v25, v13
	v_fmac_f32_e32 v18, 0xbf737871, v10
	v_sub_f32_e32 v19, v9, v17
	v_fmac_f32_e32 v30, 0x3f737871, v26
	v_sub_f32_e32 v44, v32, v24
	v_sub_f32_e32 v32, v24, v32
	v_add_f32_e32 v24, v28, v24
	v_add_f32_e32 v28, v4, v41
	v_fmac_f32_e32 v43, 0xbf737871, v23
	v_fmac_f32_e32 v55, 0x3f737871, v23
	v_fmac_f32_e32 v15, 0x3f737871, v10
	v_fma_f32 v7, -0.5, v7, v29
	v_fmac_f32_e32 v18, 0xbf167918, v19
	v_fmac_f32_e32 v30, 0x3f167918, v23
	v_fma_f32 v28, -0.5, v28, v0
	v_fmac_f32_e32 v43, 0x3f167918, v26
	v_fmac_f32_e32 v55, 0xbf167918, v26
	;; [unrolled: 1-line block ×4, first 2 shown]
	v_mov_b32_e32 v11, v7
	v_fmac_f32_e32 v18, 0x3e9e377a, v14
	v_fmac_f32_e32 v30, 0x3e9e377a, v22
	v_fmac_f32_e32 v43, 0x3e9e377a, v54
	v_fmac_f32_e32 v55, 0x3e9e377a, v54
	v_mov_b32_e32 v54, v28
	v_fmac_f32_e32 v28, 0xbf737871, v19
	v_fmac_f32_e32 v27, 0xbf167918, v23
	;; [unrolled: 1-line block ×3, first 2 shown]
	v_sub_f32_e32 v14, v20, v12
	v_fmac_f32_e32 v11, 0x3f737871, v2
	v_add_f32_e32 v29, v29, v33
	v_mul_f32_e32 v51, 0x3f4f1bbd, v30
	v_fmac_f32_e32 v28, 0x3f167918, v10
	v_fmac_f32_e32 v7, 0xbf737871, v2
	;; [unrolled: 1-line block ×3, first 2 shown]
	v_add_f32_e32 v22, v44, v14
	v_mul_f32_e32 v14, 0x3f4f1bbd, v18
	v_add_f32_e32 v0, v0, v4
	v_fmac_f32_e32 v11, 0x3f167918, v6
	v_fma_f32 v51, v18, s7, -v51
	v_add_f32_e32 v29, v29, v25
	v_fmac_f32_e32 v28, 0x3e9e377a, v52
	v_fmac_f32_e32 v7, 0xbf167918, v6
	v_fma_f32 v18, v30, s5, -v14
	v_mul_f32_e32 v30, 0x3f737871, v55
	v_add_f32_e32 v0, v0, v8
	v_fmac_f32_e32 v11, 0x3e9e377a, v3
	v_sub_f32_e32 v33, v33, v21
	v_sub_f32_e32 v25, v25, v13
	v_fmac_f32_e32 v54, 0x3f737871, v19
	v_fmac_f32_e32 v7, 0x3e9e377a, v3
	v_mul_f32_e32 v3, 0xbf737871, v28
	v_sub_f32_e32 v14, v12, v20
	v_add_f32_e32 v13, v29, v13
	v_mov_b32_e32 v29, v35
	v_add_f32_e32 v1, v1, v5
	v_fmac_f32_e32 v30, 0x3e9e377a, v28
	v_mov_b32_e32 v28, v34
	v_add_f32_e32 v12, v24, v12
	v_add_f32_e32 v0, v0, v16
	v_fmac_f32_e32 v54, 0xbf167918, v10
	v_fmac_f32_e32 v29, 0x3f737871, v25
	;; [unrolled: 1-line block ×3, first 2 shown]
	v_add_f32_e32 v1, v1, v9
	v_fmac_f32_e32 v28, 0xbf737871, v33
	v_fmac_f32_e32 v34, 0x3f737871, v33
	v_add_f32_e32 v20, v12, v20
	v_add_f32_e32 v0, v0, v41
	v_fmac_f32_e32 v54, 0x3e9e377a, v52
	v_mul_f32_e32 v19, 0xbf167918, v15
	v_add_f32_e32 v23, v32, v14
	v_fmac_f32_e32 v29, 0xbf167918, v33
	v_fmac_f32_e32 v35, 0x3f167918, v33
	v_add_f32_e32 v1, v1, v17
	v_fmac_f32_e32 v28, 0xbf167918, v25
	v_fmac_f32_e32 v34, 0x3f167918, v25
	v_mul_f32_e32 v15, 0x3f4f1bbd, v15
	v_sub_f32_e32 v16, v20, v0
	v_add_f32_e32 v20, v20, v0
	v_mul_i32_i24_e32 v0, 10, v40
	v_mul_f32_e32 v6, 0x3e9e377a, v43
	v_fmac_f32_e32 v3, 0x3e9e377a, v55
	v_fmac_f32_e32 v19, 0x3f4f1bbd, v27
	v_add_f32_e32 v21, v13, v21
	v_mul_f32_e32 v13, 0x3e9e377a, v54
	v_fmac_f32_e32 v29, 0x3e9e377a, v23
	v_fmac_f32_e32 v35, 0x3e9e377a, v23
	v_add_f32_e32 v23, v1, v42
	v_fmac_f32_e32 v28, 0x3e9e377a, v22
	v_fmac_f32_e32 v34, 0x3e9e377a, v22
	;; [unrolled: 1-line block ×3, first 2 shown]
	v_lshlrev_b32_e32 v0, 3, v0
	v_fma_f32 v52, v54, s6, -v6
	v_sub_f32_e32 v10, v31, v3
	v_sub_f32_e32 v14, v7, v19
	v_fma_f32 v26, v43, s4, -v13
	v_sub_f32_e32 v17, v21, v23
	v_sub_f32_e32 v1, v28, v18
	v_add_f32_e32 v12, v31, v3
	v_add_f32_e32 v19, v7, v19
	v_add_f32_e32 v21, v21, v23
	v_add_f32_e32 v3, v28, v18
	v_add_f32_e32 v18, v34, v15
	v_add3_u32 v0, 0, v0, v50
	v_sub_f32_e32 v2, v11, v51
	v_sub_f32_e32 v6, v53, v52
	;; [unrolled: 1-line block ×5, first 2 shown]
	v_add_f32_e32 v4, v11, v51
	v_add_f32_e32 v8, v53, v52
	;; [unrolled: 1-line block ×4, first 2 shown]
	ds_write2_b64 v0, v[20:21], v[18:19] offset1:1
	ds_write2_b64 v0, v[11:12], v[7:8] offset0:2 offset1:3
	ds_write2_b64 v0, v[3:4], v[16:17] offset0:4 offset1:5
	ds_write2_b64 v0, v[13:14], v[9:10] offset0:6 offset1:7
	ds_write2_b64 v0, v[5:6], v[1:2] offset0:8 offset1:9
.LBB0_15:
	s_or_b64 exec, exec, s[2:3]
	s_movk_i32 s2, 0xcd
	v_mul_lo_u16_sdwa v0, v36, s2 dst_sel:DWORD dst_unused:UNUSED_PAD src0_sel:BYTE_0 src1_sel:DWORD
	v_lshrrev_b16_e32 v51, 11, v0
	v_mul_lo_u16_e32 v0, 10, v51
	v_sub_u16_e32 v52, v36, v0
	v_mov_b32_e32 v0, 5
	v_mul_lo_u16_sdwa v2, v40, s2 dst_sel:DWORD dst_unused:UNUSED_PAD src0_sel:BYTE_0 src1_sel:DWORD
	v_lshlrev_b32_sdwa v1, v0, v52 dst_sel:DWORD dst_unused:UNUSED_PAD src0_sel:DWORD src1_sel:BYTE_0
	v_lshrrev_b16_e32 v53, 11, v2
	s_waitcnt lgkmcnt(0)
	s_barrier
	global_load_dwordx4 v[4:7], v1, s[8:9]
	v_mul_lo_u16_e32 v2, 10, v53
	v_sub_u16_e32 v54, v40, v2
	v_lshlrev_b32_sdwa v2, v0, v54 dst_sel:DWORD dst_unused:UNUSED_PAD src0_sel:DWORD src1_sel:BYTE_0
	global_load_dwordx4 v[8:11], v2, s[8:9]
	v_add_u32_e32 v3, 60, v36
	v_mul_lo_u16_sdwa v12, v3, s2 dst_sel:DWORD dst_unused:UNUSED_PAD src0_sel:BYTE_0 src1_sel:DWORD
	v_lshrrev_b16_e32 v55, 11, v12
	v_mul_lo_u16_e32 v12, 10, v55
	v_sub_u16_e32 v56, v3, v12
	v_lshlrev_b32_sdwa v0, v0, v56 dst_sel:DWORD dst_unused:UNUSED_PAD src0_sel:DWORD src1_sel:BYTE_0
	global_load_dwordx4 v[12:15], v0, s[8:9]
	global_load_dwordx4 v[16:19], v1, s[8:9] offset:16
	global_load_dwordx4 v[20:23], v2, s[8:9] offset:16
	;; [unrolled: 1-line block ×3, first 2 shown]
	ds_read2_b64 v[28:31], v37 offset0:60 offset1:90
	ds_read2_b64 v[32:35], v37 offset0:180 offset1:210
	ds_read2_b64 v[41:44], v37 offset0:120 offset1:150
	s_movk_i32 s2, 0x190
	s_movk_i32 s4, 0x4b0
	s_waitcnt vmcnt(5) lgkmcnt(2)
	v_mul_f32_e32 v0, v5, v31
	v_mul_f32_e32 v57, v5, v30
	s_waitcnt lgkmcnt(1)
	v_mul_f32_e32 v1, v7, v33
	v_mul_f32_e32 v58, v7, v32
	v_fma_f32 v30, v4, v30, -v0
	v_fmac_f32_e32 v57, v4, v31
	v_fma_f32 v31, v6, v32, -v1
	v_fmac_f32_e32 v58, v6, v33
	ds_read2_b64 v[4:7], v49 offset0:112 offset1:142
	s_waitcnt vmcnt(4)
	v_mul_f32_e32 v0, v35, v11
	v_mul_f32_e32 v32, v34, v11
	v_fma_f32 v33, v34, v10, -v0
	s_waitcnt lgkmcnt(1)
	v_mul_f32_e32 v0, v42, v9
	v_fmac_f32_e32 v32, v35, v10
	v_mul_f32_e32 v34, v41, v9
	v_fma_f32 v35, v41, v8, -v0
	s_waitcnt vmcnt(3)
	v_mul_f32_e32 v0, v44, v13
	v_fmac_f32_e32 v34, v42, v8
	v_mul_f32_e32 v41, v43, v13
	v_fma_f32 v42, v43, v12, -v0
	s_waitcnt lgkmcnt(0)
	v_mul_f32_e32 v1, v5, v15
	v_mul_f32_e32 v43, v4, v15
	ds_read2_b64 v[8:11], v48 offset0:104 offset1:134
	v_fmac_f32_e32 v41, v44, v12
	s_waitcnt vmcnt(2)
	v_mul_f32_e32 v2, v17, v7
	v_fma_f32 v44, v4, v14, -v1
	v_fmac_f32_e32 v43, v5, v14
	v_mul_f32_e32 v14, v17, v6
	v_fma_f32 v15, v16, v6, -v2
	v_fmac_f32_e32 v14, v16, v7
	ds_read2_b64 v[4:7], v48 offset0:44 offset1:74
	v_lshlrev_b32_e32 v0, 3, v40
	v_add3_u32 v2, 0, v0, v50
	s_waitcnt lgkmcnt(1)
	v_mul_f32_e32 v0, v9, v19
	v_mul_f32_e32 v16, v8, v19
	s_waitcnt vmcnt(1)
	v_mul_f32_e32 v1, v11, v23
	v_fma_f32 v17, v8, v18, -v0
	v_mul_f32_e32 v23, v10, v23
	s_waitcnt lgkmcnt(0)
	v_mul_f32_e32 v0, v5, v21
	v_fmac_f32_e32 v16, v9, v18
	v_fma_f32 v19, v10, v22, -v1
	v_fmac_f32_e32 v23, v11, v22
	v_fma_f32 v22, v4, v20, -v0
	ds_read_b64 v[0:1], v45
	ds_read_b64 v[8:9], v37 offset:3360
	s_waitcnt vmcnt(0)
	v_mul_f32_e32 v10, v7, v25
	v_mul_f32_e32 v60, v6, v25
	v_fma_f32 v61, v6, v24, -v10
	v_add_f32_e32 v6, v31, v15
	s_waitcnt lgkmcnt(0)
	v_mul_f32_e32 v11, v9, v27
	v_mul_f32_e32 v62, v8, v27
	v_fma_f32 v6, -0.5, v6, v0
	v_fma_f32 v25, v8, v26, -v11
	v_fmac_f32_e32 v62, v9, v26
	v_sub_f32_e32 v9, v57, v16
	v_mov_b32_e32 v8, v6
	v_sub_f32_e32 v11, v58, v14
	v_fmac_f32_e32 v8, 0x3f737871, v9
	v_sub_f32_e32 v10, v30, v31
	v_sub_f32_e32 v12, v17, v15
	v_fmac_f32_e32 v6, 0xbf737871, v9
	v_fmac_f32_e32 v60, v7, v24
	v_add_f32_e32 v7, v0, v30
	v_fmac_f32_e32 v8, 0x3f167918, v11
	v_add_f32_e32 v10, v10, v12
	v_fmac_f32_e32 v6, 0xbf167918, v11
	v_fmac_f32_e32 v8, 0x3e9e377a, v10
	;; [unrolled: 1-line block ×3, first 2 shown]
	v_add_f32_e32 v10, v30, v17
	v_add_f32_e32 v7, v7, v31
	v_fma_f32 v0, -0.5, v10, v0
	v_sub_f32_e32 v10, v31, v30
	v_sub_f32_e32 v12, v15, v17
	v_add_f32_e32 v7, v7, v15
	v_add_f32_e32 v13, v10, v12
	v_mov_b32_e32 v10, v0
	v_add_f32_e32 v12, v7, v17
	v_add_f32_e32 v7, v1, v57
	v_fmac_f32_e32 v10, 0xbf737871, v11
	v_fmac_f32_e32 v0, 0x3f737871, v11
	v_add_f32_e32 v7, v7, v58
	v_fmac_f32_e32 v10, 0x3f167918, v9
	v_fmac_f32_e32 v0, 0xbf167918, v9
	;; [unrolled: 3-line block ×3, first 2 shown]
	v_add_f32_e32 v13, v7, v16
	v_add_f32_e32 v7, v58, v14
	v_fma_f32 v7, -0.5, v7, v1
	v_sub_f32_e32 v17, v30, v17
	v_mov_b32_e32 v9, v7
	v_fmac_f32_e32 v9, 0xbf737871, v17
	v_sub_f32_e32 v15, v31, v15
	v_sub_f32_e32 v11, v57, v58
	;; [unrolled: 1-line block ×3, first 2 shown]
	v_fmac_f32_e32 v7, 0x3f737871, v17
	v_fmac_f32_e32 v9, 0xbf167918, v15
	v_add_f32_e32 v11, v11, v18
	v_fmac_f32_e32 v7, 0x3f167918, v15
	v_mul_f32_e32 v59, v4, v21
	v_fmac_f32_e32 v9, 0x3e9e377a, v11
	v_fmac_f32_e32 v7, 0x3e9e377a, v11
	v_add_f32_e32 v11, v57, v16
	v_fmac_f32_e32 v59, v5, v20
	ds_read_b64 v[4:5], v2
	v_fmac_f32_e32 v1, -0.5, v11
	v_mov_b32_e32 v11, v1
	v_fmac_f32_e32 v11, 0x3f737871, v15
	v_sub_f32_e32 v18, v58, v57
	v_sub_f32_e32 v14, v14, v16
	v_fmac_f32_e32 v1, 0xbf737871, v15
	v_fmac_f32_e32 v11, 0xbf167918, v17
	v_add_f32_e32 v14, v18, v14
	v_fmac_f32_e32 v1, 0x3f167918, v17
	v_fmac_f32_e32 v11, 0x3e9e377a, v14
	;; [unrolled: 1-line block ×3, first 2 shown]
	v_add_f32_e32 v14, v33, v22
	s_waitcnt lgkmcnt(0)
	v_fma_f32 v14, -0.5, v14, v4
	v_sub_f32_e32 v17, v34, v23
	v_mov_b32_e32 v16, v14
	v_fmac_f32_e32 v16, 0x3f737871, v17
	v_sub_f32_e32 v20, v32, v59
	v_sub_f32_e32 v18, v35, v33
	;; [unrolled: 1-line block ×3, first 2 shown]
	v_fmac_f32_e32 v14, 0xbf737871, v17
	v_fmac_f32_e32 v16, 0x3f167918, v20
	v_add_f32_e32 v18, v18, v21
	v_fmac_f32_e32 v14, 0xbf167918, v20
	v_add_f32_e32 v15, v4, v35
	v_fmac_f32_e32 v16, 0x3e9e377a, v18
	v_fmac_f32_e32 v14, 0x3e9e377a, v18
	v_add_f32_e32 v18, v35, v19
	v_fma_f32 v4, -0.5, v18, v4
	v_sub_f32_e32 v18, v33, v35
	v_sub_f32_e32 v21, v22, v19
	v_add_f32_e32 v15, v15, v33
	v_add_f32_e32 v21, v18, v21
	v_mov_b32_e32 v18, v4
	v_add_f32_e32 v15, v15, v22
	v_fmac_f32_e32 v18, 0xbf737871, v20
	v_fmac_f32_e32 v4, 0x3f737871, v20
	v_add_f32_e32 v20, v15, v19
	v_add_f32_e32 v15, v5, v34
	;; [unrolled: 1-line block ×3, first 2 shown]
	v_fmac_f32_e32 v18, 0x3f167918, v17
	v_fmac_f32_e32 v4, 0xbf167918, v17
	v_add_f32_e32 v15, v15, v59
	v_fmac_f32_e32 v18, 0x3e9e377a, v21
	v_fmac_f32_e32 v4, 0x3e9e377a, v21
	v_add_f32_e32 v21, v15, v23
	v_add_f32_e32 v15, v32, v59
	v_fma_f32 v15, -0.5, v15, v5
	v_sub_f32_e32 v24, v35, v19
	v_mov_b32_e32 v17, v15
	v_fmac_f32_e32 v17, 0xbf737871, v24
	v_sub_f32_e32 v22, v33, v22
	v_sub_f32_e32 v19, v34, v32
	;; [unrolled: 1-line block ×3, first 2 shown]
	v_fmac_f32_e32 v15, 0x3f737871, v24
	v_fmac_f32_e32 v17, 0xbf167918, v22
	v_add_f32_e32 v19, v19, v26
	v_fmac_f32_e32 v15, 0x3f167918, v22
	v_fmac_f32_e32 v17, 0x3e9e377a, v19
	;; [unrolled: 1-line block ×3, first 2 shown]
	v_add_f32_e32 v19, v34, v23
	v_fmac_f32_e32 v5, -0.5, v19
	v_mov_b32_e32 v19, v5
	v_fmac_f32_e32 v19, 0x3f737871, v22
	v_fmac_f32_e32 v5, 0xbf737871, v22
	v_add_f32_e32 v22, v44, v61
	v_fma_f32 v22, -0.5, v22, v28
	v_fmac_f32_e32 v19, 0xbf167918, v24
	v_sub_f32_e32 v26, v32, v34
	v_sub_f32_e32 v23, v59, v23
	v_fmac_f32_e32 v5, 0x3f167918, v24
	v_sub_f32_e32 v27, v41, v62
	v_mov_b32_e32 v24, v22
	v_add_f32_e32 v23, v26, v23
	v_fmac_f32_e32 v24, 0x3f737871, v27
	v_sub_f32_e32 v30, v43, v60
	v_sub_f32_e32 v26, v42, v44
	;; [unrolled: 1-line block ×3, first 2 shown]
	v_fmac_f32_e32 v22, 0xbf737871, v27
	v_fmac_f32_e32 v24, 0x3f167918, v30
	v_add_f32_e32 v26, v26, v31
	v_fmac_f32_e32 v22, 0xbf167918, v30
	v_fmac_f32_e32 v19, 0x3e9e377a, v23
	;; [unrolled: 1-line block ×3, first 2 shown]
	v_add_f32_e32 v23, v28, v42
	v_fmac_f32_e32 v24, 0x3e9e377a, v26
	v_fmac_f32_e32 v22, 0x3e9e377a, v26
	v_add_f32_e32 v26, v42, v25
	v_fma_f32 v28, -0.5, v26, v28
	v_sub_f32_e32 v26, v44, v42
	v_sub_f32_e32 v31, v61, v25
	v_add_f32_e32 v23, v23, v44
	v_add_f32_e32 v31, v26, v31
	v_mov_b32_e32 v26, v28
	v_add_f32_e32 v23, v23, v61
	v_fmac_f32_e32 v26, 0xbf737871, v30
	v_fmac_f32_e32 v28, 0x3f737871, v30
	v_add_f32_e32 v30, v23, v25
	v_add_f32_e32 v23, v29, v41
	v_add_f32_e32 v23, v23, v43
	v_fmac_f32_e32 v26, 0x3f167918, v27
	v_fmac_f32_e32 v28, 0xbf167918, v27
	v_add_f32_e32 v23, v23, v60
	v_fmac_f32_e32 v26, 0x3e9e377a, v31
	v_fmac_f32_e32 v28, 0x3e9e377a, v31
	v_add_f32_e32 v31, v23, v62
	v_add_f32_e32 v23, v43, v60
	v_fma_f32 v23, -0.5, v23, v29
	v_sub_f32_e32 v32, v42, v25
	v_mov_b32_e32 v25, v23
	v_fmac_f32_e32 v25, 0xbf737871, v32
	v_sub_f32_e32 v33, v44, v61
	v_sub_f32_e32 v27, v41, v43
	;; [unrolled: 1-line block ×3, first 2 shown]
	v_fmac_f32_e32 v23, 0x3f737871, v32
	v_fmac_f32_e32 v25, 0xbf167918, v33
	v_add_f32_e32 v27, v27, v34
	v_fmac_f32_e32 v23, 0x3f167918, v33
	v_fmac_f32_e32 v25, 0x3e9e377a, v27
	;; [unrolled: 1-line block ×3, first 2 shown]
	v_add_f32_e32 v27, v41, v62
	v_fmac_f32_e32 v29, -0.5, v27
	v_mov_b32_e32 v27, v29
	v_fmac_f32_e32 v27, 0x3f737871, v33
	v_sub_f32_e32 v34, v43, v41
	v_fmac_f32_e32 v29, 0xbf737871, v33
	v_mov_b32_e32 v41, 3
	v_fmac_f32_e32 v27, 0xbf167918, v32
	v_fmac_f32_e32 v29, 0x3f167918, v32
	v_mad_u32_u24 v32, v51, s2, 0
	v_lshlrev_b32_sdwa v33, v41, v52 dst_sel:DWORD dst_unused:UNUSED_PAD src0_sel:DWORD src1_sel:BYTE_0
	v_add3_u32 v32, v32, v33, v50
	s_barrier
	ds_write2_b64 v32, v[12:13], v[8:9] offset1:10
	ds_write2_b64 v32, v[10:11], v[0:1] offset0:20 offset1:30
	ds_write_b64 v32, v[6:7] offset:320
	v_mad_u32_u24 v0, v53, s2, 0
	v_lshlrev_b32_sdwa v1, v41, v54 dst_sel:DWORD dst_unused:UNUSED_PAD src0_sel:DWORD src1_sel:BYTE_0
	v_add3_u32 v0, v0, v1, v50
	v_sub_f32_e32 v35, v60, v62
	ds_write2_b64 v0, v[20:21], v[16:17] offset1:10
	ds_write2_b64 v0, v[18:19], v[4:5] offset0:20 offset1:30
	ds_write_b64 v0, v[14:15] offset:320
	v_mad_u32_u24 v0, v55, s2, 0
	v_lshlrev_b32_sdwa v1, v41, v56 dst_sel:DWORD dst_unused:UNUSED_PAD src0_sel:DWORD src1_sel:BYTE_0
	v_add_f32_e32 v34, v34, v35
	v_add3_u32 v0, v0, v1, v50
	v_fmac_f32_e32 v27, 0x3e9e377a, v34
	v_fmac_f32_e32 v29, 0x3e9e377a, v34
	ds_write2_b64 v0, v[30:31], v[24:25] offset1:10
	ds_write2_b64 v0, v[26:27], v[28:29] offset0:20 offset1:30
	ds_write_b64 v0, v[22:23] offset:320
	v_lshlrev_b32_e32 v0, 1, v36
	v_mov_b32_e32 v1, 0
	v_lshlrev_b64 v[4:5], 3, v[0:1]
	v_mov_b32_e32 v42, s9
	v_add_co_u32_e64 v28, s[2:3], s8, v4
	v_addc_co_u32_e64 v29, s[2:3], v42, v5, s[2:3]
	v_subrev_u32_e32 v8, 20, v36
	v_cmp_gt_u32_e64 s[2:3], 20, v36
	v_cndmask_b32_e64 v43, v8, v40, s[2:3]
	v_lshlrev_b32_e32 v8, 1, v43
	v_mov_b32_e32 v9, v1
	v_lshlrev_b64 v[8:9], 3, v[8:9]
	s_waitcnt lgkmcnt(0)
	s_barrier
	global_load_dwordx4 v[4:7], v[28:29], off offset:320
	v_add_co_u32_e64 v8, s[2:3], s8, v8
	v_addc_co_u32_e64 v9, s[2:3], v42, v9, s[2:3]
	global_load_dwordx4 v[8:11], v[8:9], off offset:320
	v_add_u32_e32 v0, 20, v0
	v_add_u32_e32 v44, 0x5a, v36
	v_lshlrev_b64 v[12:13], 3, v[0:1]
	v_mov_b32_e32 v0, 41
	v_mul_lo_u16_sdwa v16, v44, v0 dst_sel:DWORD dst_unused:UNUSED_PAD src0_sel:BYTE_0 src1_sel:DWORD
	v_add_co_u32_e64 v12, s[2:3], s8, v12
	v_lshrrev_b16_e32 v51, 11, v16
	v_addc_co_u32_e64 v13, s[2:3], v42, v13, s[2:3]
	global_load_dwordx4 v[12:15], v[12:13], off offset:320
	v_mul_lo_u16_e32 v16, 50, v51
	v_sub_u16_e32 v52, v44, v16
	v_mov_b32_e32 v32, 4
	v_lshlrev_b32_sdwa v16, v32, v52 dst_sel:DWORD dst_unused:UNUSED_PAD src0_sel:DWORD src1_sel:BYTE_0
	global_load_dwordx4 v[16:19], v16, s[8:9] offset:320
	ds_read2_b64 v[20:23], v37 offset0:120 offset1:150
	ds_read2_b64 v[24:27], v48 offset0:44 offset1:74
	v_add_u32_e32 v53, 0x78, v36
	v_mul_lo_u16_sdwa v0, v53, v0 dst_sel:DWORD dst_unused:UNUSED_PAD src0_sel:BYTE_0 src1_sel:DWORD
	v_lshrrev_b16_e32 v0, 11, v0
	v_mul_lo_u16_e32 v0, 50, v0
	v_sub_u16_e32 v0, v53, v0
	v_cmp_lt_u32_e64 s[2:3], 19, v36
	s_waitcnt vmcnt(3) lgkmcnt(1)
	v_mul_f32_e32 v30, v5, v23
	v_mul_f32_e32 v34, v5, v22
	v_fma_f32 v33, v4, v22, -v30
	v_fmac_f32_e32 v34, v4, v23
	s_waitcnt lgkmcnt(0)
	v_mul_f32_e32 v4, v7, v25
	v_fma_f32 v35, v6, v24, -v4
	s_waitcnt vmcnt(2)
	v_mul_f32_e32 v4, v11, v27
	v_fma_f32 v55, v10, v26, -v4
	ds_read_b64 v[4:5], v37 offset:1440
	v_mul_f32_e32 v54, v7, v24
	v_fmac_f32_e32 v54, v6, v25
	ds_read2_b32 v[22:23], v49 offset0:164 offset1:165
	v_mul_f32_e32 v56, v11, v26
	s_waitcnt lgkmcnt(1)
	v_mul_f32_e32 v6, v9, v5
	v_mul_f32_e32 v58, v9, v4
	v_fmac_f32_e32 v56, v10, v27
	ds_read_b64 v[24:25], v37 offset:3360
	ds_read_b64 v[26:27], v2
	ds_read_b64 v[30:31], v45
	v_fma_f32 v57, v8, v4, -v6
	v_fmac_f32_e32 v58, v8, v5
	ds_read2_b64 v[4:7], v48 offset0:104 offset1:134
	s_waitcnt vmcnt(1) lgkmcnt(4)
	v_mul_f32_e32 v8, v23, v13
	v_fma_f32 v59, v12, v22, -v8
	v_mul_f32_e32 v60, v13, v22
	v_fmac_f32_e32 v60, v23, v12
	s_waitcnt lgkmcnt(0)
	v_mul_f32_e32 v8, v5, v15
	v_fma_f32 v61, v4, v14, -v8
	v_mul_f32_e32 v62, v4, v15
	s_waitcnt vmcnt(0)
	v_mul_f32_e32 v4, v7, v19
	v_mul_f32_e32 v64, v6, v19
	v_fmac_f32_e32 v62, v5, v14
	v_fma_f32 v63, v6, v18, -v4
	v_fmac_f32_e32 v64, v7, v18
	ds_read2_b64 v[4:7], v49 offset0:112 offset1:142
	v_lshlrev_b32_sdwa v8, v32, v0 dst_sel:DWORD dst_unused:UNUSED_PAD src0_sel:DWORD src1_sel:BYTE_0
	v_add_f32_e32 v15, v58, v56
	v_lshlrev_b32_sdwa v0, v41, v0 dst_sel:DWORD dst_unused:UNUSED_PAD src0_sel:DWORD src1_sel:BYTE_0
	v_add3_u32 v0, 0, v0, v50
	s_waitcnt lgkmcnt(0)
	v_mul_f32_e32 v9, v5, v17
	v_fma_f32 v32, v4, v16, -v9
	global_load_dwordx4 v[8:11], v8, s[8:9] offset:320
	v_mul_f32_e32 v65, v4, v17
	v_fmac_f32_e32 v65, v5, v16
	v_sub_f32_e32 v16, v57, v55
	v_sub_f32_e32 v17, v60, v62
	s_waitcnt vmcnt(0)
	v_mul_f32_e32 v4, v7, v9
	v_fma_f32 v66, v6, v8, -v4
	v_mul_f32_e32 v4, v25, v11
	v_mul_f32_e32 v67, v6, v9
	v_fma_f32 v68, v24, v10, -v4
	v_add_f32_e32 v4, v30, v33
	v_fmac_f32_e32 v67, v7, v8
	v_add_f32_e32 v8, v4, v35
	v_add_f32_e32 v4, v33, v35
	v_mul_f32_e32 v69, v24, v11
	v_fma_f32 v30, -0.5, v4, v30
	v_fmac_f32_e32 v69, v25, v10
	v_sub_f32_e32 v4, v34, v54
	v_mov_b32_e32 v10, v30
	v_fmac_f32_e32 v10, 0x3f5db3d7, v4
	v_fmac_f32_e32 v30, 0xbf5db3d7, v4
	v_add_f32_e32 v4, v31, v34
	v_add_f32_e32 v9, v4, v54
	v_add_f32_e32 v4, v34, v54
	v_fmac_f32_e32 v31, -0.5, v4
	v_sub_f32_e32 v4, v33, v35
	v_mov_b32_e32 v11, v31
	v_fmac_f32_e32 v11, 0xbf5db3d7, v4
	v_fmac_f32_e32 v31, 0x3f5db3d7, v4
	v_add_f32_e32 v4, v26, v57
	v_add_f32_e32 v12, v4, v55
	;; [unrolled: 1-line block ×3, first 2 shown]
	v_fma_f32 v26, -0.5, v4, v26
	v_sub_f32_e32 v4, v58, v56
	v_mov_b32_e32 v14, v26
	v_fmac_f32_e32 v14, 0x3f5db3d7, v4
	v_fmac_f32_e32 v26, 0xbf5db3d7, v4
	v_add_f32_e32 v4, v27, v58
	v_add_f32_e32 v13, v4, v56
	ds_read2_b64 v[4:7], v37 offset0:60 offset1:90
	v_fmac_f32_e32 v27, -0.5, v15
	v_mov_b32_e32 v15, v27
	v_fmac_f32_e32 v15, 0xbf5db3d7, v16
	v_fmac_f32_e32 v27, 0x3f5db3d7, v16
	v_add_f32_e32 v16, v59, v61
	s_waitcnt lgkmcnt(0)
	v_fma_f32 v16, -0.5, v16, v4
	v_add_f32_e32 v4, v4, v59
	v_add_f32_e32 v22, v4, v61
	;; [unrolled: 1-line block ×3, first 2 shown]
	v_mov_b32_e32 v18, v16
	v_add_f32_e32 v23, v4, v62
	v_add_f32_e32 v4, v60, v62
	v_fmac_f32_e32 v18, 0x3f5db3d7, v17
	v_fmac_f32_e32 v16, 0xbf5db3d7, v17
	v_fma_f32 v17, -0.5, v4, v5
	v_sub_f32_e32 v4, v59, v61
	v_mov_b32_e32 v19, v17
	v_fmac_f32_e32 v19, 0xbf5db3d7, v4
	v_fmac_f32_e32 v17, 0x3f5db3d7, v4
	v_add_f32_e32 v4, v32, v63
	v_add_f32_e32 v5, v6, v32
	v_fma_f32 v6, -0.5, v4, v6
	v_sub_f32_e32 v24, v65, v64
	v_mov_b32_e32 v4, v6
	v_fmac_f32_e32 v4, 0x3f5db3d7, v24
	v_fmac_f32_e32 v6, 0xbf5db3d7, v24
	v_add_f32_e32 v24, v5, v63
	v_add_f32_e32 v5, v7, v65
	;; [unrolled: 1-line block ×4, first 2 shown]
	v_fmac_f32_e32 v7, -0.5, v5
	v_sub_f32_e32 v32, v32, v63
	v_mov_b32_e32 v5, v7
	v_fmac_f32_e32 v5, 0xbf5db3d7, v32
	v_fmac_f32_e32 v7, 0x3f5db3d7, v32
	v_add_f32_e32 v32, v66, v68
	v_add_f32_e32 v33, v20, v66
	v_fma_f32 v20, -0.5, v32, v20
	s_barrier
	ds_write2_b64 v37, v[8:9], v[10:11] offset1:50
	ds_write_b64 v37, v[30:31] offset:800
	v_mov_b32_e32 v8, 0x4b0
	v_sub_f32_e32 v34, v67, v69
	v_mov_b32_e32 v32, v20
	v_cndmask_b32_e64 v8, 0, v8, s[2:3]
	v_fmac_f32_e32 v32, 0x3f5db3d7, v34
	v_fmac_f32_e32 v20, 0xbf5db3d7, v34
	v_add_f32_e32 v34, v33, v68
	v_add_f32_e32 v33, v21, v67
	v_add_u32_e32 v8, 0, v8
	v_lshlrev_b32_e32 v9, 3, v43
	v_add_f32_e32 v35, v33, v69
	v_add_f32_e32 v33, v67, v69
	v_add3_u32 v8, v8, v9, v50
	v_fmac_f32_e32 v21, -0.5, v33
	ds_write2_b64 v8, v[12:13], v[14:15] offset1:50
	ds_write_b64 v8, v[26:27] offset:800
	ds_write2_b64 v37, v[22:23], v[18:19] offset0:160 offset1:210
	ds_write_b64 v37, v[16:17] offset:2080
	v_mad_u32_u24 v8, v51, s4, 0
	v_lshlrev_b32_sdwa v9, v41, v52 dst_sel:DWORD dst_unused:UNUSED_PAD src0_sel:DWORD src1_sel:BYTE_0
	v_sub_f32_e32 v54, v66, v68
	v_mov_b32_e32 v33, v21
	v_add3_u32 v8, v8, v9, v50
	v_fmac_f32_e32 v33, 0xbf5db3d7, v54
	ds_write2_b64 v8, v[24:25], v[4:5] offset1:50
	ds_write_b64 v8, v[6:7] offset:800
	v_add_u32_e32 v4, 0x800, v0
	v_fmac_f32_e32 v21, 0x3f5db3d7, v54
	ds_write2_b64 v4, v[34:35], v[32:33] offset0:44 offset1:94
	ds_write_b64 v0, v[20:21] offset:3200
	v_lshlrev_b32_e32 v0, 1, v40
	v_lshlrev_b64 v[4:5], 3, v[0:1]
	s_waitcnt lgkmcnt(0)
	v_add_co_u32_e64 v12, s[2:3], s8, v4
	v_addc_co_u32_e64 v13, s[2:3], v42, v5, s[2:3]
	s_barrier
	global_load_dwordx4 v[4:7], v[12:13], off offset:1120
	global_load_dwordx4 v[8:11], v[28:29], off offset:1120
	v_lshlrev_b32_e32 v0, 1, v3
	v_lshlrev_b64 v[12:13], 3, v[0:1]
	v_lshlrev_b32_e32 v0, 1, v44
	v_add_co_u32_e64 v12, s[2:3], s8, v12
	v_lshlrev_b64 v[16:17], 3, v[0:1]
	v_addc_co_u32_e64 v13, s[2:3], v42, v13, s[2:3]
	v_lshlrev_b32_e32 v0, 1, v53
	global_load_dwordx4 v[12:15], v[12:13], off offset:1120
	v_add_co_u32_e64 v16, s[2:3], s8, v16
	v_lshlrev_b64 v[20:21], 3, v[0:1]
	v_addc_co_u32_e64 v17, s[2:3], v42, v17, s[2:3]
	global_load_dwordx4 v[16:19], v[16:17], off offset:1120
	v_add_co_u32_e64 v20, s[2:3], s8, v20
	v_addc_co_u32_e64 v21, s[2:3], v42, v21, s[2:3]
	global_load_dwordx4 v[20:23], v[20:21], off offset:1120
	ds_read2_b64 v[24:27], v37 offset0:120 offset1:150
	ds_read2_b64 v[28:31], v48 offset0:44 offset1:74
	ds_read_b64 v[41:42], v45
	ds_read_b64 v[43:44], v37 offset:1440
	ds_read2_b64 v[32:35], v37 offset0:60 offset1:90
	ds_read2_b32 v[50:51], v49 offset0:164 offset1:165
	ds_read_b64 v[52:53], v2
	ds_read_b64 v[54:55], v37 offset:3360
	v_cmp_ne_u32_e64 s[2:3], 0, v36
	s_waitcnt vmcnt(4) lgkmcnt(4)
	v_mul_f32_e32 v0, v5, v44
	v_fma_f32 v0, v4, v43, -v0
	v_mul_f32_e32 v43, v5, v43
	v_mul_f32_e32 v3, v7, v31
	;; [unrolled: 1-line block ×3, first 2 shown]
	v_fmac_f32_e32 v43, v4, v44
	v_fma_f32 v44, v6, v30, -v3
	v_fmac_f32_e32 v56, v6, v31
	ds_read2_b64 v[3:6], v48 offset0:104 offset1:134
	s_waitcnt vmcnt(3)
	v_mul_f32_e32 v7, v11, v29
	v_mul_f32_e32 v11, v11, v28
	v_fma_f32 v7, v10, v28, -v7
	v_fmac_f32_e32 v11, v10, v29
	ds_read2_b64 v[28:31], v49 offset0:112 offset1:142
	v_mul_f32_e32 v10, v9, v27
	v_mul_f32_e32 v9, v9, v26
	v_fma_f32 v10, v8, v26, -v10
	v_fmac_f32_e32 v9, v8, v27
	s_waitcnt vmcnt(2) lgkmcnt(4)
	v_mul_f32_e32 v8, v51, v13
	v_fma_f32 v26, v12, v50, -v8
	s_waitcnt lgkmcnt(1)
	v_mul_f32_e32 v8, v4, v15
	v_mul_f32_e32 v27, v13, v50
	v_fma_f32 v49, v3, v14, -v8
	v_mul_f32_e32 v50, v3, v15
	s_waitcnt vmcnt(1) lgkmcnt(0)
	v_mul_f32_e32 v3, v29, v17
	v_fmac_f32_e32 v27, v51, v12
	v_fma_f32 v51, v28, v16, -v3
	v_mul_f32_e32 v28, v28, v17
	v_mul_f32_e32 v3, v6, v19
	v_fmac_f32_e32 v28, v29, v16
	v_fma_f32 v29, v5, v18, -v3
	s_waitcnt vmcnt(0)
	v_mul_f32_e32 v3, v31, v21
	v_fmac_f32_e32 v50, v4, v14
	v_fma_f32 v58, v30, v20, -v3
	v_mul_f32_e32 v30, v30, v21
	v_mul_f32_e32 v3, v55, v23
	v_add_f32_e32 v4, v10, v7
	v_mul_f32_e32 v57, v5, v19
	v_fmac_f32_e32 v30, v31, v20
	v_fma_f32 v31, v54, v22, -v3
	v_add_f32_e32 v3, v41, v10
	v_fma_f32 v41, -0.5, v4, v41
	v_fmac_f32_e32 v57, v6, v18
	v_sub_f32_e32 v4, v9, v11
	v_mov_b32_e32 v5, v41
	v_add_f32_e32 v6, v9, v11
	v_fmac_f32_e32 v5, 0x3f5db3d7, v4
	v_fmac_f32_e32 v41, 0xbf5db3d7, v4
	v_add_f32_e32 v4, v42, v9
	v_fmac_f32_e32 v42, -0.5, v6
	v_add_f32_e32 v3, v3, v7
	v_sub_f32_e32 v7, v10, v7
	v_mov_b32_e32 v6, v42
	v_add_f32_e32 v8, v0, v44
	v_fmac_f32_e32 v6, 0xbf5db3d7, v7
	v_fmac_f32_e32 v42, 0x3f5db3d7, v7
	v_add_f32_e32 v7, v52, v0
	v_fma_f32 v52, -0.5, v8, v52
	v_sub_f32_e32 v8, v43, v56
	v_mov_b32_e32 v9, v52
	v_add_f32_e32 v10, v43, v56
	v_fmac_f32_e32 v9, 0x3f5db3d7, v8
	v_fmac_f32_e32 v52, 0xbf5db3d7, v8
	v_add_f32_e32 v8, v53, v43
	v_fmac_f32_e32 v53, -0.5, v10
	v_sub_f32_e32 v0, v0, v44
	v_mov_b32_e32 v10, v53
	v_fmac_f32_e32 v10, 0xbf5db3d7, v0
	v_fmac_f32_e32 v53, 0x3f5db3d7, v0
	v_add_f32_e32 v0, v32, v26
	v_add_f32_e32 v4, v4, v11
	;; [unrolled: 1-line block ×4, first 2 shown]
	v_fma_f32 v13, -0.5, v0, v32
	v_sub_f32_e32 v0, v27, v50
	v_mov_b32_e32 v15, v13
	v_fmac_f32_e32 v15, 0x3f5db3d7, v0
	v_fmac_f32_e32 v13, 0xbf5db3d7, v0
	v_add_f32_e32 v0, v33, v27
	v_add_f32_e32 v12, v0, v50
	v_add_f32_e32 v0, v27, v50
	v_fma_f32 v14, -0.5, v0, v33
	v_sub_f32_e32 v0, v26, v49
	v_mov_b32_e32 v16, v14
	v_fmac_f32_e32 v16, 0xbf5db3d7, v0
	v_fmac_f32_e32 v14, 0x3f5db3d7, v0
	v_add_f32_e32 v0, v34, v51
	v_add_f32_e32 v17, v0, v29
	v_add_f32_e32 v0, v51, v29
	;; [unrolled: 8-line block ×3, first 2 shown]
	v_fmac_f32_e32 v35, -0.5, v0
	v_sub_f32_e32 v0, v51, v29
	v_mov_b32_e32 v20, v35
	v_fmac_f32_e32 v20, 0xbf5db3d7, v0
	v_fmac_f32_e32 v35, 0x3f5db3d7, v0
	v_add_f32_e32 v0, v24, v58
	v_mul_f32_e32 v23, v54, v23
	v_add_f32_e32 v21, v0, v31
	v_add_f32_e32 v0, v58, v31
	v_fmac_f32_e32 v23, v55, v22
	v_fma_f32 v24, -0.5, v0, v24
	v_sub_f32_e32 v0, v30, v23
	v_mov_b32_e32 v26, v24
	v_fmac_f32_e32 v26, 0x3f5db3d7, v0
	v_fmac_f32_e32 v24, 0xbf5db3d7, v0
	v_add_f32_e32 v0, v25, v30
	v_add_f32_e32 v22, v0, v23
	;; [unrolled: 1-line block ×3, first 2 shown]
	v_fmac_f32_e32 v25, -0.5, v0
	v_add_f32_e32 v7, v7, v44
	v_sub_f32_e32 v0, v58, v31
	v_mov_b32_e32 v27, v25
	v_add_f32_e32 v8, v8, v56
	v_fmac_f32_e32 v27, 0xbf5db3d7, v0
	v_fmac_f32_e32 v25, 0x3f5db3d7, v0
	s_barrier
	ds_write_b64 v37, v[3:4]
	ds_write_b64 v37, v[5:6] offset:1200
	ds_write_b64 v37, v[41:42] offset:2400
	ds_write2_b64 v2, v[7:8], v[9:10] offset1:150
	ds_write_b64 v2, v[52:53] offset:2400
	ds_write2_b64 v37, v[11:12], v[17:18] offset0:60 offset1:90
	ds_write2_b64 v37, v[15:16], v[19:20] offset0:210 offset1:240
	;; [unrolled: 1-line block ×3, first 2 shown]
	ds_write_b64 v37, v[21:22] offset:960
	ds_write_b64 v37, v[26:27] offset:2160
	;; [unrolled: 1-line block ×3, first 2 shown]
	s_waitcnt lgkmcnt(0)
	s_barrier
	ds_read_b64 v[6:7], v45
	v_sub_u32_e32 v8, v46, v47
                                        ; implicit-def: $vgpr5
                                        ; implicit-def: $vgpr9
                                        ; implicit-def: $vgpr2_vgpr3
	s_and_saveexec_b64 s[4:5], s[2:3]
	s_xor_b64 s[4:5], exec, s[4:5]
	s_cbranch_execz .LBB0_17
; %bb.16:
	v_mov_b32_e32 v37, v1
	v_lshlrev_b64 v[0:1], 3, v[36:37]
	v_mov_b32_e32 v2, s9
	v_add_co_u32_e64 v0, s[2:3], s8, v0
	v_addc_co_u32_e64 v1, s[2:3], v2, v1, s[2:3]
	global_load_dwordx2 v[0:1], v[0:1], off offset:3520
	ds_read_b64 v[2:3], v8 offset:3600
	s_waitcnt lgkmcnt(0)
	v_add_f32_e32 v4, v2, v6
	v_sub_f32_e32 v2, v6, v2
	v_add_f32_e32 v5, v3, v7
	v_sub_f32_e32 v3, v7, v3
	v_mul_f32_e32 v2, 0.5, v2
	v_mul_f32_e32 v6, 0.5, v5
	;; [unrolled: 1-line block ×3, first 2 shown]
	s_waitcnt vmcnt(0)
	v_mul_f32_e32 v5, v1, v2
	v_fma_f32 v7, v6, v1, v3
	v_fma_f32 v1, v6, v1, -v3
	v_fma_f32 v3, 0.5, v4, v5
	v_fmac_f32_e32 v3, v0, v6
	v_fma_f32 v9, -v0, v2, v7
	v_fma_f32 v4, v4, 0.5, -v5
	v_fma_f32 v5, -v0, v2, v1
	ds_write_b32 v45, v3
	v_mov_b32_e32 v2, v36
	v_fma_f32 v4, -v0, v6, v4
	v_mov_b32_e32 v3, v37
                                        ; implicit-def: $vgpr6_vgpr7
.LBB0_17:
	s_andn2_saveexec_b64 s[2:3], s[4:5]
	s_cbranch_execz .LBB0_19
; %bb.18:
	ds_read_b32 v0, v46 offset:1804
	v_mov_b32_e32 v2, 0
	v_mov_b32_e32 v9, 0
	s_waitcnt lgkmcnt(1)
	v_add_f32_e32 v1, v6, v7
	v_sub_f32_e32 v4, v6, v7
	v_mov_b32_e32 v3, 0
	s_waitcnt lgkmcnt(0)
	v_xor_b32_e32 v0, 0x80000000, v0
	v_mov_b32_e32 v5, v9
	ds_write_b32 v45, v1
	ds_write_b32 v46, v0 offset:1804
.LBB0_19:
	s_or_b64 exec, exec, s[2:3]
	v_mov_b32_e32 v41, 0
	v_lshlrev_b64 v[0:1], 3, v[40:41]
	s_waitcnt lgkmcnt(0)
	v_mov_b32_e32 v6, s9
	v_add_co_u32_e64 v0, s[2:3], s8, v0
	v_addc_co_u32_e64 v1, s[2:3], v6, v1, s[2:3]
	global_load_dwordx2 v[6:7], v[0:1], off offset:3520
	s_add_u32 s2, s8, 0xdc0
	v_lshlrev_b64 v[0:1], 3, v[2:3]
	s_addc_u32 s3, s9, 0
	v_mov_b32_e32 v3, s3
	v_add_co_u32_e64 v2, s[2:3], s2, v0
	v_addc_co_u32_e64 v3, s[2:3], v3, v1, s[2:3]
	global_load_dwordx2 v[10:11], v[2:3], off offset:480
	global_load_dwordx2 v[12:13], v[2:3], off offset:720
	ds_write_b32 v45, v9 offset:4
	ds_write_b64 v8, v[4:5] offset:3600
	v_lshl_add_u32 v9, v40, 3, v46
	ds_read_b64 v[4:5], v9
	ds_read_b64 v[14:15], v8 offset:3360
	global_load_dwordx2 v[16:17], v[2:3], off offset:960
	s_waitcnt lgkmcnt(0)
	v_add_f32_e32 v18, v4, v14
	v_sub_f32_e32 v4, v4, v14
	v_add_f32_e32 v19, v5, v15
	v_sub_f32_e32 v5, v5, v15
	v_mul_f32_e32 v15, 0.5, v4
	v_mul_f32_e32 v14, 0.5, v19
	;; [unrolled: 1-line block ×3, first 2 shown]
	s_waitcnt vmcnt(3)
	v_mul_f32_e32 v19, v7, v15
	v_fma_f32 v5, v14, v7, v4
	v_fma_f32 v7, v14, v7, -v4
	v_fma_f32 v4, 0.5, v18, v19
	v_fma_f32 v5, -v6, v15, v5
	v_fma_f32 v18, v18, 0.5, -v19
	v_fmac_f32_e32 v4, v6, v14
	v_fma_f32 v7, -v6, v15, v7
	v_fma_f32 v6, -v6, v14, v18
	ds_write_b64 v9, v[4:5]
	ds_write_b64 v8, v[6:7] offset:3360
	ds_read_b64 v[4:5], v45 offset:480
	ds_read_b64 v[6:7], v8 offset:3120
	global_load_dwordx2 v[14:15], v[2:3], off offset:1200
	s_waitcnt lgkmcnt(0)
	v_add_f32_e32 v9, v4, v6
	v_sub_f32_e32 v4, v4, v6
	v_add_f32_e32 v18, v5, v7
	v_sub_f32_e32 v5, v5, v7
	v_mul_f32_e32 v7, 0.5, v4
	v_mul_f32_e32 v6, 0.5, v18
	;; [unrolled: 1-line block ×3, first 2 shown]
	s_waitcnt vmcnt(3)
	v_mul_f32_e32 v18, v11, v7
	v_fma_f32 v5, v6, v11, v4
	v_fma_f32 v11, v6, v11, -v4
	v_fma_f32 v4, 0.5, v9, v18
	v_fma_f32 v5, -v10, v7, v5
	v_fma_f32 v9, v9, 0.5, -v18
	v_fmac_f32_e32 v4, v10, v6
	v_fma_f32 v7, -v10, v7, v11
	v_fma_f32 v6, -v10, v6, v9
	ds_write_b64 v45, v[4:5] offset:480
	ds_write_b64 v8, v[6:7] offset:3120
	ds_read_b64 v[4:5], v45 offset:720
	ds_read_b64 v[6:7], v8 offset:2880
	global_load_dwordx2 v[9:10], v[2:3], off offset:1440
	s_waitcnt lgkmcnt(0)
	v_add_f32_e32 v11, v4, v6
	v_sub_f32_e32 v4, v4, v6
	v_add_f32_e32 v18, v5, v7
	v_sub_f32_e32 v5, v5, v7
	v_mul_f32_e32 v7, 0.5, v4
	v_mul_f32_e32 v6, 0.5, v18
	v_mul_f32_e32 v4, 0.5, v5
	s_waitcnt vmcnt(3)
	v_mul_f32_e32 v18, v13, v7
	v_fma_f32 v5, v6, v13, v4
	v_fma_f32 v13, v6, v13, -v4
	v_fma_f32 v4, 0.5, v11, v18
	v_fma_f32 v5, -v12, v7, v5
	v_fma_f32 v11, v11, 0.5, -v18
	v_fmac_f32_e32 v4, v12, v6
	v_fma_f32 v7, -v12, v7, v13
	v_fma_f32 v6, -v12, v6, v11
	ds_write_b64 v45, v[4:5] offset:720
	ds_write_b64 v8, v[6:7] offset:2880
	ds_read_b64 v[4:5], v45 offset:960
	ds_read_b64 v[6:7], v8 offset:2640
	s_waitcnt lgkmcnt(0)
	v_add_f32_e32 v11, v4, v6
	v_sub_f32_e32 v4, v4, v6
	v_add_f32_e32 v12, v5, v7
	v_sub_f32_e32 v5, v5, v7
	v_mul_f32_e32 v7, 0.5, v4
	v_mul_f32_e32 v6, 0.5, v12
	v_mul_f32_e32 v4, 0.5, v5
	s_waitcnt vmcnt(2)
	v_mul_f32_e32 v12, v17, v7
	v_fma_f32 v5, v6, v17, v4
	v_fma_f32 v13, v6, v17, -v4
	v_fma_f32 v4, 0.5, v11, v12
	v_fma_f32 v5, -v16, v7, v5
	v_fma_f32 v11, v11, 0.5, -v12
	v_fmac_f32_e32 v4, v16, v6
	v_fma_f32 v7, -v16, v7, v13
	v_fma_f32 v6, -v16, v6, v11
	ds_write_b64 v45, v[4:5] offset:960
	ds_write_b64 v8, v[6:7] offset:2640
	ds_read_b64 v[4:5], v45 offset:1200
	ds_read_b64 v[6:7], v8 offset:2400
	;; [unrolled: 22-line block ×3, first 2 shown]
	s_waitcnt lgkmcnt(0)
	v_add_f32_e32 v11, v4, v6
	v_sub_f32_e32 v4, v4, v6
	v_add_f32_e32 v12, v5, v7
	v_sub_f32_e32 v5, v5, v7
	v_mul_f32_e32 v7, 0.5, v4
	v_mul_f32_e32 v6, 0.5, v12
	;; [unrolled: 1-line block ×3, first 2 shown]
	s_waitcnt vmcnt(0)
	v_mul_f32_e32 v12, v10, v7
	v_fma_f32 v5, v6, v10, v4
	v_fma_f32 v10, v6, v10, -v4
	v_fma_f32 v4, 0.5, v11, v12
	v_fma_f32 v5, -v9, v7, v5
	v_fma_f32 v11, v11, 0.5, -v12
	v_fmac_f32_e32 v4, v9, v6
	v_fma_f32 v7, -v9, v7, v10
	v_fma_f32 v6, -v9, v6, v11
	ds_write_b64 v45, v[4:5] offset:1440
	ds_write_b64 v8, v[6:7] offset:2160
	s_and_saveexec_b64 s[2:3], s[0:1]
	s_cbranch_execz .LBB0_21
; %bb.20:
	global_load_dwordx2 v[2:3], v[2:3], off offset:1680
	ds_read_b64 v[4:5], v45 offset:1680
	ds_read_b64 v[6:7], v8 offset:1920
	s_waitcnt lgkmcnt(0)
	v_add_f32_e32 v9, v4, v6
	v_sub_f32_e32 v4, v4, v6
	v_add_f32_e32 v10, v5, v7
	v_sub_f32_e32 v5, v5, v7
	v_mul_f32_e32 v6, 0.5, v4
	v_mul_f32_e32 v7, 0.5, v10
	;; [unrolled: 1-line block ×3, first 2 shown]
	s_waitcnt vmcnt(0)
	v_mul_f32_e32 v5, v3, v6
	v_fma_f32 v10, v7, v3, v4
	v_fma_f32 v11, v7, v3, -v4
	v_fma_f32 v3, 0.5, v9, v5
	v_fma_f32 v4, -v2, v6, v10
	v_fma_f32 v5, v9, 0.5, -v5
	v_fmac_f32_e32 v3, v2, v7
	v_fma_f32 v6, -v2, v6, v11
	v_fma_f32 v5, -v2, v7, v5
	ds_write_b64 v45, v[3:4] offset:1680
	ds_write_b64 v8, v[5:6] offset:1920
.LBB0_21:
	s_or_b64 exec, exec, s[2:3]
	s_waitcnt lgkmcnt(0)
	s_barrier
	s_and_saveexec_b64 s[0:1], vcc
	s_cbranch_execz .LBB0_24
; %bb.22:
	ds_read2_b64 v[4:7], v45 offset1:30
	v_mov_b32_e32 v3, s13
	v_add_co_u32_e32 v2, vcc, s12, v38
	ds_read2_b64 v[8:11], v45 offset0:60 offset1:90
	v_addc_co_u32_e32 v3, vcc, v3, v39, vcc
	v_add_co_u32_e32 v0, vcc, v2, v0
	v_addc_co_u32_e32 v1, vcc, v3, v1, vcc
	s_waitcnt lgkmcnt(1)
	global_store_dwordx2 v[0:1], v[4:5], off
	ds_read2_b64 v[12:15], v45 offset0:120 offset1:150
	global_store_dwordx2 v[0:1], v[6:7], off offset:240
	s_waitcnt lgkmcnt(1)
	global_store_dwordx2 v[0:1], v[8:9], off offset:480
	global_store_dwordx2 v[0:1], v[10:11], off offset:720
	ds_read2_b64 v[4:7], v45 offset0:180 offset1:210
	s_waitcnt lgkmcnt(1)
	global_store_dwordx2 v[0:1], v[12:13], off offset:960
	global_store_dwordx2 v[0:1], v[14:15], off offset:1200
	v_add_u32_e32 v8, 0x400, v45
	ds_read2_b64 v[8:11], v8 offset0:112 offset1:142
	s_waitcnt lgkmcnt(1)
	global_store_dwordx2 v[0:1], v[4:5], off offset:1440
	global_store_dwordx2 v[0:1], v[6:7], off offset:1680
	v_add_u32_e32 v12, 0x800, v45
	ds_read2_b64 v[4:7], v12 offset0:44 offset1:74
	ds_read2_b64 v[12:15], v12 offset0:104 offset1:134
	s_waitcnt lgkmcnt(2)
	global_store_dwordx2 v[0:1], v[8:9], off offset:1920
	ds_read_b64 v[8:9], v45 offset:3360
	v_cmp_eq_u32_e32 vcc, 29, v36
	global_store_dwordx2 v[0:1], v[10:11], off offset:2160
	s_waitcnt lgkmcnt(2)
	global_store_dwordx2 v[0:1], v[4:5], off offset:2400
	global_store_dwordx2 v[0:1], v[6:7], off offset:2640
	s_waitcnt lgkmcnt(1)
	global_store_dwordx2 v[0:1], v[12:13], off offset:2880
	;; [unrolled: 3-line block ×3, first 2 shown]
	s_and_b64 exec, exec, vcc
	s_cbranch_execz .LBB0_24
; %bb.23:
	ds_read_b64 v[0:1], v45 offset:3368
	s_waitcnt lgkmcnt(0)
	global_store_dwordx2 v[2:3], v[0:1], off offset:3600
.LBB0_24:
	s_endpgm
	.section	.rodata,"a",@progbits
	.p2align	6, 0x0
	.amdhsa_kernel fft_rtc_fwd_len450_factors_10_5_3_3_wgs_120_tpt_30_halfLds_sp_ip_CI_unitstride_sbrr_R2C_dirReg
		.amdhsa_group_segment_fixed_size 0
		.amdhsa_private_segment_fixed_size 0
		.amdhsa_kernarg_size 88
		.amdhsa_user_sgpr_count 6
		.amdhsa_user_sgpr_private_segment_buffer 1
		.amdhsa_user_sgpr_dispatch_ptr 0
		.amdhsa_user_sgpr_queue_ptr 0
		.amdhsa_user_sgpr_kernarg_segment_ptr 1
		.amdhsa_user_sgpr_dispatch_id 0
		.amdhsa_user_sgpr_flat_scratch_init 0
		.amdhsa_user_sgpr_private_segment_size 0
		.amdhsa_uses_dynamic_stack 0
		.amdhsa_system_sgpr_private_segment_wavefront_offset 0
		.amdhsa_system_sgpr_workgroup_id_x 1
		.amdhsa_system_sgpr_workgroup_id_y 0
		.amdhsa_system_sgpr_workgroup_id_z 0
		.amdhsa_system_sgpr_workgroup_info 0
		.amdhsa_system_vgpr_workitem_id 0
		.amdhsa_next_free_vgpr 70
		.amdhsa_next_free_sgpr 22
		.amdhsa_reserve_vcc 1
		.amdhsa_reserve_flat_scratch 0
		.amdhsa_float_round_mode_32 0
		.amdhsa_float_round_mode_16_64 0
		.amdhsa_float_denorm_mode_32 3
		.amdhsa_float_denorm_mode_16_64 3
		.amdhsa_dx10_clamp 1
		.amdhsa_ieee_mode 1
		.amdhsa_fp16_overflow 0
		.amdhsa_exception_fp_ieee_invalid_op 0
		.amdhsa_exception_fp_denorm_src 0
		.amdhsa_exception_fp_ieee_div_zero 0
		.amdhsa_exception_fp_ieee_overflow 0
		.amdhsa_exception_fp_ieee_underflow 0
		.amdhsa_exception_fp_ieee_inexact 0
		.amdhsa_exception_int_div_zero 0
	.end_amdhsa_kernel
	.text
.Lfunc_end0:
	.size	fft_rtc_fwd_len450_factors_10_5_3_3_wgs_120_tpt_30_halfLds_sp_ip_CI_unitstride_sbrr_R2C_dirReg, .Lfunc_end0-fft_rtc_fwd_len450_factors_10_5_3_3_wgs_120_tpt_30_halfLds_sp_ip_CI_unitstride_sbrr_R2C_dirReg
                                        ; -- End function
	.section	.AMDGPU.csdata,"",@progbits
; Kernel info:
; codeLenInByte = 9148
; NumSgprs: 26
; NumVgprs: 70
; ScratchSize: 0
; MemoryBound: 0
; FloatMode: 240
; IeeeMode: 1
; LDSByteSize: 0 bytes/workgroup (compile time only)
; SGPRBlocks: 3
; VGPRBlocks: 17
; NumSGPRsForWavesPerEU: 26
; NumVGPRsForWavesPerEU: 70
; Occupancy: 3
; WaveLimiterHint : 1
; COMPUTE_PGM_RSRC2:SCRATCH_EN: 0
; COMPUTE_PGM_RSRC2:USER_SGPR: 6
; COMPUTE_PGM_RSRC2:TRAP_HANDLER: 0
; COMPUTE_PGM_RSRC2:TGID_X_EN: 1
; COMPUTE_PGM_RSRC2:TGID_Y_EN: 0
; COMPUTE_PGM_RSRC2:TGID_Z_EN: 0
; COMPUTE_PGM_RSRC2:TIDIG_COMP_CNT: 0
	.type	__hip_cuid_7fa0d60c86e2b0e5,@object ; @__hip_cuid_7fa0d60c86e2b0e5
	.section	.bss,"aw",@nobits
	.globl	__hip_cuid_7fa0d60c86e2b0e5
__hip_cuid_7fa0d60c86e2b0e5:
	.byte	0                               ; 0x0
	.size	__hip_cuid_7fa0d60c86e2b0e5, 1

	.ident	"AMD clang version 19.0.0git (https://github.com/RadeonOpenCompute/llvm-project roc-6.4.0 25133 c7fe45cf4b819c5991fe208aaa96edf142730f1d)"
	.section	".note.GNU-stack","",@progbits
	.addrsig
	.addrsig_sym __hip_cuid_7fa0d60c86e2b0e5
	.amdgpu_metadata
---
amdhsa.kernels:
  - .args:
      - .actual_access:  read_only
        .address_space:  global
        .offset:         0
        .size:           8
        .value_kind:     global_buffer
      - .offset:         8
        .size:           8
        .value_kind:     by_value
      - .actual_access:  read_only
        .address_space:  global
        .offset:         16
        .size:           8
        .value_kind:     global_buffer
      - .actual_access:  read_only
        .address_space:  global
        .offset:         24
        .size:           8
        .value_kind:     global_buffer
      - .offset:         32
        .size:           8
        .value_kind:     by_value
      - .actual_access:  read_only
        .address_space:  global
        .offset:         40
        .size:           8
        .value_kind:     global_buffer
      - .actual_access:  read_only
        .address_space:  global
        .offset:         48
        .size:           8
        .value_kind:     global_buffer
      - .offset:         56
        .size:           4
        .value_kind:     by_value
      - .actual_access:  read_only
        .address_space:  global
        .offset:         64
        .size:           8
        .value_kind:     global_buffer
      - .actual_access:  read_only
        .address_space:  global
        .offset:         72
        .size:           8
        .value_kind:     global_buffer
      - .address_space:  global
        .offset:         80
        .size:           8
        .value_kind:     global_buffer
    .group_segment_fixed_size: 0
    .kernarg_segment_align: 8
    .kernarg_segment_size: 88
    .language:       OpenCL C
    .language_version:
      - 2
      - 0
    .max_flat_workgroup_size: 120
    .name:           fft_rtc_fwd_len450_factors_10_5_3_3_wgs_120_tpt_30_halfLds_sp_ip_CI_unitstride_sbrr_R2C_dirReg
    .private_segment_fixed_size: 0
    .sgpr_count:     26
    .sgpr_spill_count: 0
    .symbol:         fft_rtc_fwd_len450_factors_10_5_3_3_wgs_120_tpt_30_halfLds_sp_ip_CI_unitstride_sbrr_R2C_dirReg.kd
    .uniform_work_group_size: 1
    .uses_dynamic_stack: false
    .vgpr_count:     70
    .vgpr_spill_count: 0
    .wavefront_size: 64
amdhsa.target:   amdgcn-amd-amdhsa--gfx906
amdhsa.version:
  - 1
  - 2
...

	.end_amdgpu_metadata
